;; amdgpu-corpus repo=ROCm/rocFFT kind=compiled arch=gfx1201 opt=O3
	.text
	.amdgcn_target "amdgcn-amd-amdhsa--gfx1201"
	.amdhsa_code_object_version 6
	.protected	bluestein_single_back_len648_dim1_sp_op_CI_CI ; -- Begin function bluestein_single_back_len648_dim1_sp_op_CI_CI
	.globl	bluestein_single_back_len648_dim1_sp_op_CI_CI
	.p2align	8
	.type	bluestein_single_back_len648_dim1_sp_op_CI_CI,@function
bluestein_single_back_len648_dim1_sp_op_CI_CI: ; @bluestein_single_back_len648_dim1_sp_op_CI_CI
; %bb.0:
	s_load_b128 s[8:11], s[0:1], 0x28
	v_mul_u32_u24_e32 v1, 0x130, v0
	s_mov_b32 s2, exec_lo
	v_mov_b32_e32 v33, 0
	s_delay_alu instid0(VALU_DEP_2) | instskip(NEXT) | instid1(VALU_DEP_1)
	v_lshrrev_b32_e32 v1, 16, v1
	v_add_nc_u32_e32 v32, ttmp9, v1
	s_wait_kmcnt 0x0
	s_delay_alu instid0(VALU_DEP_1)
	v_cmpx_gt_u64_e64 s[8:9], v[32:33]
	s_cbranch_execz .LBB0_15
; %bb.1:
	s_clause 0x1
	s_load_b64 s[12:13], s[0:1], 0x0
	s_load_b64 s[8:9], s[0:1], 0x38
	v_mul_lo_u16 v1, 0xd8, v1
	s_delay_alu instid0(VALU_DEP_1) | instskip(NEXT) | instid1(VALU_DEP_1)
	v_sub_nc_u16 v0, v0, v1
	v_and_b32_e32 v33, 0xffff, v0
	v_cmp_gt_u16_e32 vcc_lo, 0x51, v0
	s_delay_alu instid0(VALU_DEP_2)
	v_lshlrev_b32_e32 v34, 3, v33
	s_and_saveexec_b32 s3, vcc_lo
	s_cbranch_execz .LBB0_3
; %bb.2:
	s_load_b64 s[4:5], s[0:1], 0x18
	s_wait_kmcnt 0x0
	s_load_b128 s[4:7], s[4:5], 0x0
	s_wait_kmcnt 0x0
	v_mad_co_u64_u32 v[0:1], null, s6, v32, 0
	v_mad_co_u64_u32 v[2:3], null, s4, v33, 0
	s_delay_alu instid0(VALU_DEP_1) | instskip(NEXT) | instid1(VALU_DEP_1)
	v_mad_co_u64_u32 v[4:5], null, s7, v32, v[1:2]
	v_mad_co_u64_u32 v[5:6], null, s5, v33, v[3:4]
	v_mov_b32_e32 v1, v4
	s_mul_u64 s[4:5], s[4:5], 0x288
	s_delay_alu instid0(VALU_DEP_1) | instskip(NEXT) | instid1(VALU_DEP_3)
	v_lshlrev_b64_e32 v[0:1], 3, v[0:1]
	v_mov_b32_e32 v3, v5
	s_delay_alu instid0(VALU_DEP_2) | instskip(NEXT) | instid1(VALU_DEP_2)
	v_add_co_u32 v10, s2, s10, v0
	v_lshlrev_b64_e32 v[2:3], 3, v[2:3]
	s_delay_alu instid0(VALU_DEP_4)
	v_add_co_ci_u32_e64 v11, s2, s11, v1, s2
	s_clause 0x5
	global_load_b64 v[0:1], v34, s[12:13]
	global_load_b64 v[4:5], v34, s[12:13] offset:648
	global_load_b64 v[6:7], v34, s[12:13] offset:1296
	;; [unrolled: 1-line block ×5, first 2 shown]
	v_add_co_u32 v2, s2, v10, v2
	s_wait_alu 0xf1ff
	v_add_co_ci_u32_e64 v3, s2, v11, v3, s2
	s_wait_alu 0xfffe
	s_delay_alu instid0(VALU_DEP_2) | instskip(SKIP_1) | instid1(VALU_DEP_2)
	v_add_co_u32 v10, s2, v2, s4
	s_wait_alu 0xf1ff
	v_add_co_ci_u32_e64 v11, s2, s5, v3, s2
	global_load_b64 v[2:3], v[2:3], off
	v_add_co_u32 v16, s2, v10, s4
	s_wait_alu 0xf1ff
	v_add_co_ci_u32_e64 v17, s2, s5, v11, s2
	global_load_b64 v[10:11], v[10:11], off
	v_add_co_u32 v18, s2, v16, s4
	s_wait_alu 0xf1ff
	v_add_co_ci_u32_e64 v19, s2, s5, v17, s2
	s_delay_alu instid0(VALU_DEP_2) | instskip(SKIP_1) | instid1(VALU_DEP_2)
	v_add_co_u32 v20, s2, v18, s4
	s_wait_alu 0xf1ff
	v_add_co_ci_u32_e64 v21, s2, s5, v19, s2
	s_clause 0x1
	global_load_b64 v[16:17], v[16:17], off
	global_load_b64 v[18:19], v[18:19], off
	v_add_co_u32 v22, s2, v20, s4
	s_wait_alu 0xf1ff
	v_add_co_ci_u32_e64 v23, s2, s5, v21, s2
	global_load_b64 v[20:21], v[20:21], off
	v_add_co_u32 v24, s2, v22, s4
	s_wait_alu 0xf1ff
	v_add_co_ci_u32_e64 v25, s2, s5, v23, s2
	;; [unrolled: 4-line block ×3, first 2 shown]
	global_load_b64 v[24:25], v[24:25], off
	s_clause 0x1
	global_load_b64 v[28:29], v34, s[12:13] offset:3888
	global_load_b64 v[30:31], v34, s[12:13] offset:4536
	global_load_b64 v[26:27], v[26:27], off
	v_add_nc_u32_e32 v37, 0x800, v34
	s_wait_loadcnt 0x9
	v_mul_f32_e32 v35, v3, v1
	v_mul_f32_e32 v36, v2, v1
	s_delay_alu instid0(VALU_DEP_2) | instskip(SKIP_4) | instid1(VALU_DEP_3)
	v_fmac_f32_e32 v35, v2, v0
	s_wait_loadcnt 0x8
	v_mul_f32_e32 v1, v11, v5
	v_mul_f32_e32 v2, v10, v5
	v_fma_f32 v36, v3, v0, -v36
	v_fmac_f32_e32 v1, v10, v4
	s_delay_alu instid0(VALU_DEP_3) | instskip(SKIP_4) | instid1(VALU_DEP_2)
	v_fma_f32 v2, v11, v4, -v2
	s_wait_loadcnt 0x7
	v_mul_f32_e32 v5, v17, v7
	s_wait_loadcnt 0x6
	v_dual_mul_f32 v0, v16, v7 :: v_dual_mul_f32 v3, v19, v9
	v_fmac_f32_e32 v5, v16, v6
	s_delay_alu instid0(VALU_DEP_2)
	v_fma_f32 v6, v17, v6, -v0
	v_mul_f32_e32 v0, v18, v9
	s_wait_loadcnt 0x5
	v_mul_f32_e32 v7, v21, v13
	v_dual_mul_f32 v10, v20, v13 :: v_dual_fmac_f32 v3, v18, v8
	s_wait_loadcnt 0x4
	v_mul_f32_e32 v9, v23, v15
	v_fma_f32 v4, v19, v8, -v0
	v_dual_mul_f32 v0, v22, v15 :: v_dual_fmac_f32 v7, v20, v12
	v_fma_f32 v8, v21, v12, -v10
	s_wait_loadcnt 0x2
	v_mul_f32_e32 v12, v24, v29
	v_mul_f32_e32 v11, v25, v29
	s_wait_loadcnt 0x0
	v_mul_f32_e32 v13, v27, v31
	v_mul_f32_e32 v15, v26, v31
	v_fmac_f32_e32 v9, v22, v14
	v_fma_f32 v10, v23, v14, -v0
	v_fmac_f32_e32 v11, v24, v28
	v_fma_f32 v12, v25, v28, -v12
	;; [unrolled: 2-line block ×3, first 2 shown]
	v_add_nc_u32_e32 v0, 0xc00, v34
	ds_store_2addr_b64 v34, v[35:36], v[1:2] offset1:81
	ds_store_2addr_b64 v34, v[5:6], v[3:4] offset0:162 offset1:243
	ds_store_2addr_b64 v37, v[7:8], v[9:10] offset0:68 offset1:149
	;; [unrolled: 1-line block ×3, first 2 shown]
.LBB0_3:
	s_or_b32 exec_lo, exec_lo, s3
	s_clause 0x1
	s_load_b64 s[2:3], s[0:1], 0x20
	s_load_b64 s[4:5], s[0:1], 0x8
	global_wb scope:SCOPE_SE
	s_wait_dscnt 0x0
	s_wait_kmcnt 0x0
	s_barrier_signal -1
	s_barrier_wait -1
	global_inv scope:SCOPE_SE
                                        ; implicit-def: $vgpr6
                                        ; implicit-def: $vgpr14
                                        ; implicit-def: $vgpr2
                                        ; implicit-def: $vgpr10
	s_and_saveexec_b32 s0, vcc_lo
	s_cbranch_execz .LBB0_5
; %bb.4:
	v_add_nc_u32_e32 v4, 0x800, v34
	v_add_nc_u32_e32 v5, 0xc00, v34
	ds_load_2addr_b64 v[8:11], v34 offset1:81
	ds_load_2addr_b64 v[0:3], v34 offset0:162 offset1:243
	ds_load_2addr_b64 v[12:15], v4 offset0:68 offset1:149
	ds_load_2addr_b64 v[4:7], v5 offset0:102 offset1:183
.LBB0_5:
	s_wait_alu 0xfffe
	s_or_b32 exec_lo, exec_lo, s0
	s_wait_dscnt 0x1
	v_dual_sub_f32 v12, v8, v12 :: v_dual_sub_f32 v13, v9, v13
	s_wait_dscnt 0x0
	v_dual_sub_f32 v16, v0, v4 :: v_dual_sub_f32 v5, v1, v5
	v_dual_sub_f32 v14, v10, v14 :: v_dual_sub_f32 v15, v11, v15
	s_delay_alu instid0(VALU_DEP_3) | instskip(SKIP_1) | instid1(VALU_DEP_4)
	v_fma_f32 v9, v9, 2.0, -v13
	v_fma_f32 v8, v8, 2.0, -v12
	;; [unrolled: 1-line block ×4, first 2 shown]
	v_dual_sub_f32 v6, v2, v6 :: v_dual_sub_f32 v7, v3, v7
	v_fma_f32 v10, v10, 2.0, -v14
	s_delay_alu instid0(VALU_DEP_4) | instskip(SKIP_1) | instid1(VALU_DEP_4)
	v_sub_f32_e32 v4, v9, v1
	v_fma_f32 v11, v11, 2.0, -v15
	v_fma_f32 v17, v2, 2.0, -v6
	v_sub_f32_e32 v0, v8, v0
	v_fma_f32 v18, v3, 2.0, -v7
	v_sub_f32_e32 v7, v14, v7
	;; [unrolled: 2-line block ×3, first 2 shown]
	s_delay_alu instid0(VALU_DEP_4) | instskip(SKIP_3) | instid1(VALU_DEP_4)
	v_dual_add_f32 v9, v16, v13 :: v_dual_sub_f32 v16, v11, v18
	v_add_f32_e32 v6, v6, v15
	v_fma_f32 v1, v8, 2.0, -v0
	v_sub_f32_e32 v8, v12, v5
	v_fma_f32 v5, v13, 2.0, -v9
	v_fma_f32 v20, v14, 2.0, -v7
	;; [unrolled: 1-line block ×5, first 2 shown]
	v_sub_f32_e32 v16, v0, v16
	v_add_f32_e32 v17, v17, v4
	v_fmamk_f32 v15, v21, 0xbf3504f3, v5
	v_fmamk_f32 v19, v6, 0x3f3504f3, v9
	v_fma_f32 v3, v12, 2.0, -v8
	v_fmamk_f32 v18, v7, 0x3f3504f3, v8
	v_dual_sub_f32 v12, v1, v10 :: v_dual_sub_f32 v13, v2, v11
	s_delay_alu instid0(VALU_DEP_4) | instskip(NEXT) | instid1(VALU_DEP_4)
	v_fmac_f32_e32 v19, 0x3f3504f3, v7
	v_fmamk_f32 v14, v20, 0xbf3504f3, v3
	s_delay_alu instid0(VALU_DEP_4)
	v_fmac_f32_e32 v18, 0xbf3504f3, v6
	v_fmac_f32_e32 v15, 0x3f3504f3, v20
	v_lshlrev_b16 v35, 3, v33
	v_fma_f32 v11, v9, 2.0, -v19
	v_fmac_f32_e32 v14, 0xbf3504f3, v21
	v_fma_f32 v10, v8, 2.0, -v18
	global_wb scope:SCOPE_SE
	s_barrier_signal -1
	s_barrier_wait -1
	global_inv scope:SCOPE_SE
	s_and_saveexec_b32 s0, vcc_lo
	s_cbranch_execz .LBB0_7
; %bb.6:
	v_and_b32_e32 v6, 0xffff, v35
	v_fma_f32 v9, v4, 2.0, -v17
	v_fma_f32 v4, v5, 2.0, -v15
	;; [unrolled: 1-line block ×5, first 2 shown]
	v_lshlrev_b32_e32 v5, 3, v6
	v_fma_f32 v8, v0, 2.0, -v16
	ds_store_b128 v5, v[1:4]
	ds_store_b128 v5, v[8:11] offset:16
	ds_store_b128 v5, v[12:15] offset:32
	;; [unrolled: 1-line block ×3, first 2 shown]
.LBB0_7:
	s_wait_alu 0xfffe
	s_or_b32 exec_lo, exec_lo, s0
	v_and_b32_e32 v20, 7, v33
	s_load_b128 s[0:3], s[2:3], 0x0
	global_wb scope:SCOPE_SE
	s_wait_dscnt 0x0
	s_wait_kmcnt 0x0
	s_barrier_signal -1
	s_barrier_wait -1
	v_lshlrev_b32_e32 v0, 4, v20
	global_inv scope:SCOPE_SE
	v_lshrrev_b32_e32 v22, 3, v33
	global_load_b128 v[0:3], v0, s[4:5]
	ds_load_2addr_b64 v[4:7], v34 offset1:216
	ds_load_b64 v[8:9], v34 offset:3456
	v_mul_u32_u24_e32 v22, 24, v22
	global_wb scope:SCOPE_SE
	s_wait_loadcnt_dscnt 0x0
	s_barrier_signal -1
	s_barrier_wait -1
	global_inv scope:SCOPE_SE
	v_dual_mul_f32 v26, v6, v1 :: v_dual_mul_f32 v27, v8, v3
	v_and_b32_e32 v21, 0xff, v33
	v_mul_f32_e32 v25, v9, v3
	v_or_b32_e32 v20, v22, v20
	s_delay_alu instid0(VALU_DEP_4) | instskip(NEXT) | instid1(VALU_DEP_4)
	v_dual_fmac_f32 v26, v7, v0 :: v_dual_fmac_f32 v27, v9, v2
	v_mul_lo_u16 v23, 0xab, v21
	s_delay_alu instid0(VALU_DEP_4) | instskip(NEXT) | instid1(VALU_DEP_4)
	v_fma_f32 v8, v8, v2, -v25
	v_lshlrev_b32_e32 v36, 3, v20
	s_delay_alu instid0(VALU_DEP_4) | instskip(NEXT) | instid1(VALU_DEP_4)
	v_add_f32_e32 v20, v26, v27
	v_lshrrev_b16 v24, 12, v23
	v_mul_f32_e32 v23, v7, v1
	s_delay_alu instid0(VALU_DEP_2) | instskip(NEXT) | instid1(VALU_DEP_2)
	v_mul_lo_u16 v22, v24, 24
	v_fma_f32 v6, v6, v0, -v23
	v_add_f32_e32 v23, v5, v26
	v_fma_f32 v5, -0.5, v20, v5
	s_delay_alu instid0(VALU_DEP_4) | instskip(NEXT) | instid1(VALU_DEP_4)
	v_sub_nc_u16 v22, v33, v22
	v_add_f32_e32 v9, v4, v6
	s_delay_alu instid0(VALU_DEP_2) | instskip(SKIP_2) | instid1(VALU_DEP_4)
	v_dual_sub_f32 v22, v26, v27 :: v_dual_and_b32 v25, 0xff, v22
	v_add_f32_e32 v7, v6, v8
	v_sub_f32_e32 v26, v6, v8
	v_add_f32_e32 v6, v9, v8
	s_delay_alu instid0(VALU_DEP_4) | instskip(NEXT) | instid1(VALU_DEP_4)
	v_lshlrev_b32_e32 v20, 4, v25
	v_fma_f32 v4, -0.5, v7, v4
	v_add_f32_e32 v7, v23, v27
	v_fmamk_f32 v9, v26, 0xbf5db3d7, v5
	v_fmac_f32_e32 v5, 0x3f5db3d7, v26
	v_mul_lo_u16 v26, v21, 57
	v_fmamk_f32 v8, v22, 0x3f5db3d7, v4
	v_fmac_f32_e32 v4, 0xbf5db3d7, v22
	ds_store_2addr_b64 v36, v[6:7], v[8:9] offset1:8
	ds_store_b64 v36, v[4:5] offset:128
	global_wb scope:SCOPE_SE
	s_wait_dscnt 0x0
	s_barrier_signal -1
	s_barrier_wait -1
	global_inv scope:SCOPE_SE
	global_load_b128 v[4:7], v20, s[4:5] offset:128
	ds_load_2addr_b64 v[20:23], v34 offset1:216
	ds_load_b64 v[8:9], v34 offset:3456
	v_lshrrev_b16 v28, 12, v26
	v_and_b32_e32 v24, 0xffff, v24
	global_wb scope:SCOPE_SE
	s_wait_loadcnt_dscnt 0x0
	s_barrier_signal -1
	s_barrier_wait -1
	v_mul_lo_u16 v26, 0x48, v28
	global_inv scope:SCOPE_SE
	v_sub_nc_u16 v26, v33, v26
	s_delay_alu instid0(VALU_DEP_1) | instskip(SKIP_3) | instid1(VALU_DEP_4)
	v_dual_mul_f32 v26, v23, v5 :: v_dual_and_b32 v29, 0xff, v26
	v_mul_f32_e32 v27, v9, v7
	v_mul_u32_u24_e32 v24, 0x48, v24
	v_dual_mul_f32 v30, v22, v5 :: v_dual_mul_f32 v31, v8, v7
	v_fma_f32 v22, v22, v4, -v26
	s_delay_alu instid0(VALU_DEP_3) | instskip(SKIP_1) | instid1(VALU_DEP_4)
	v_add_lshl_u32 v37, v24, v25, 3
	v_fma_f32 v24, v8, v6, -v27
	v_dual_fmac_f32 v30, v23, v4 :: v_dual_fmac_f32 v31, v9, v6
	v_lshlrev_b32_e32 v25, 4, v29
	s_delay_alu instid0(VALU_DEP_3) | instskip(NEXT) | instid1(VALU_DEP_3)
	v_dual_add_f32 v23, v20, v22 :: v_dual_add_f32 v8, v22, v24
	v_dual_add_f32 v27, v21, v30 :: v_dual_sub_f32 v26, v30, v31
	v_add_f32_e32 v9, v30, v31
	v_sub_f32_e32 v30, v22, v24
	s_delay_alu instid0(VALU_DEP_4) | instskip(SKIP_1) | instid1(VALU_DEP_4)
	v_fma_f32 v8, -0.5, v8, v20
	v_add_f32_e32 v20, v23, v24
	v_fma_f32 v9, -0.5, v9, v21
	s_delay_alu instid0(VALU_DEP_3) | instskip(NEXT) | instid1(VALU_DEP_2)
	v_dual_add_f32 v21, v27, v31 :: v_dual_fmamk_f32 v22, v26, 0x3f5db3d7, v8
	v_dual_fmac_f32 v8, 0xbf5db3d7, v26 :: v_dual_fmamk_f32 v23, v30, 0xbf5db3d7, v9
	v_dual_fmac_f32 v9, 0x3f5db3d7, v30 :: v_dual_lshlrev_b32 v30, 4, v33
	ds_store_2addr_b64 v37, v[20:21], v[22:23] offset1:24
	ds_store_b64 v37, v[8:9] offset:384
	global_wb scope:SCOPE_SE
	s_wait_dscnt 0x0
	s_barrier_signal -1
	s_barrier_wait -1
	global_inv scope:SCOPE_SE
	global_load_b128 v[20:23], v25, s[4:5] offset:512
	ds_load_2addr_b64 v[24:27], v34 offset1:216
	ds_load_b64 v[8:9], v34 offset:3456
	v_and_b32_e32 v28, 0xffff, v28
	global_wb scope:SCOPE_SE
	s_wait_loadcnt_dscnt 0x0
	s_barrier_signal -1
	s_barrier_wait -1
	global_inv scope:SCOPE_SE
	v_dual_mul_f32 v31, v27, v21 :: v_dual_mul_f32 v38, v9, v23
	v_dual_mul_f32 v39, v26, v21 :: v_dual_mul_f32 v40, v8, v23
	v_mul_u32_u24_e32 v28, 0xd8, v28
	s_delay_alu instid0(VALU_DEP_3) | instskip(NEXT) | instid1(VALU_DEP_4)
	v_fma_f32 v26, v26, v20, -v31
	v_fma_f32 v31, v8, v22, -v38
	s_delay_alu instid0(VALU_DEP_4) | instskip(NEXT) | instid1(VALU_DEP_4)
	v_dual_fmac_f32 v39, v27, v20 :: v_dual_fmac_f32 v40, v9, v22
	v_add_lshl_u32 v38, v28, v29, 3
	s_delay_alu instid0(VALU_DEP_3) | instskip(NEXT) | instid1(VALU_DEP_3)
	v_dual_add_f32 v27, v24, v26 :: v_dual_add_f32 v8, v26, v31
	v_dual_add_f32 v29, v25, v39 :: v_dual_sub_f32 v28, v39, v40
	s_delay_alu instid0(VALU_DEP_2) | instskip(SKIP_3) | instid1(VALU_DEP_4)
	v_fma_f32 v8, -0.5, v8, v24
	v_add_f32_e32 v9, v39, v40
	v_sub_f32_e32 v39, v26, v31
	v_add_f32_e32 v24, v27, v31
	v_fmamk_f32 v26, v28, 0x3f5db3d7, v8
	s_delay_alu instid0(VALU_DEP_4) | instskip(SKIP_1) | instid1(VALU_DEP_2)
	v_fma_f32 v9, -0.5, v9, v25
	v_add_f32_e32 v25, v29, v40
	v_dual_fmac_f32 v8, 0xbf5db3d7, v28 :: v_dual_fmamk_f32 v27, v39, 0xbf5db3d7, v9
	v_fmac_f32_e32 v9, 0x3f5db3d7, v39
	ds_store_2addr_b64 v38, v[24:25], v[26:27] offset1:72
	ds_store_b64 v38, v[8:9] offset:1152
	global_wb scope:SCOPE_SE
	s_wait_dscnt 0x0
	s_barrier_signal -1
	s_barrier_wait -1
	global_inv scope:SCOPE_SE
	global_load_b128 v[24:27], v30, s[4:5] offset:1664
	ds_load_2addr_b64 v[28:31], v34 offset1:216
	ds_load_b64 v[8:9], v34 offset:3456
	s_wait_loadcnt_dscnt 0x0
	v_dual_mul_f32 v39, v31, v25 :: v_dual_mul_f32 v40, v9, v27
	v_dual_mul_f32 v41, v30, v25 :: v_dual_mul_f32 v42, v8, v27
	s_delay_alu instid0(VALU_DEP_2) | instskip(NEXT) | instid1(VALU_DEP_3)
	v_fma_f32 v30, v30, v24, -v39
	v_fma_f32 v39, v8, v26, -v40
	s_delay_alu instid0(VALU_DEP_3) | instskip(NEXT) | instid1(VALU_DEP_2)
	v_dual_fmac_f32 v41, v31, v24 :: v_dual_fmac_f32 v42, v9, v26
	v_dual_add_f32 v31, v28, v30 :: v_dual_add_f32 v8, v30, v39
	s_delay_alu instid0(VALU_DEP_2) | instskip(SKIP_1) | instid1(VALU_DEP_3)
	v_add_f32_e32 v9, v41, v42
	v_sub_f32_e32 v40, v41, v42
	v_fma_f32 v8, -0.5, v8, v28
	s_delay_alu instid0(VALU_DEP_4) | instskip(SKIP_2) | instid1(VALU_DEP_4)
	v_dual_add_f32 v28, v31, v39 :: v_dual_add_f32 v41, v29, v41
	v_sub_f32_e32 v43, v30, v39
	v_fma_f32 v9, -0.5, v9, v29
	v_fmamk_f32 v30, v40, 0x3f5db3d7, v8
	s_delay_alu instid0(VALU_DEP_4) | instskip(NEXT) | instid1(VALU_DEP_3)
	v_dual_fmac_f32 v8, 0xbf5db3d7, v40 :: v_dual_add_f32 v29, v41, v42
	v_fmamk_f32 v31, v43, 0xbf5db3d7, v9
	v_fmac_f32_e32 v9, 0x3f5db3d7, v43
	ds_store_2addr_b64 v34, v[28:29], v[30:31] offset1:216
	ds_store_b64 v34, v[8:9] offset:3456
	global_wb scope:SCOPE_SE
	s_wait_dscnt 0x0
	s_barrier_signal -1
	s_barrier_wait -1
	global_inv scope:SCOPE_SE
	s_and_saveexec_b32 s4, vcc_lo
	s_cbranch_execz .LBB0_9
; %bb.8:
	global_load_b64 v[39:40], v34, s[12:13] offset:5184
	s_add_nc_u64 s[6:7], s[12:13], 0x1440
	s_clause 0x6
	global_load_b64 v[41:42], v34, s[6:7] offset:4536
	global_load_b64 v[51:52], v34, s[6:7] offset:648
	;; [unrolled: 1-line block ×7, first 2 shown]
	ds_load_b64 v[43:44], v34
	ds_load_b64 v[45:46], v34 offset:4536
	v_add_nc_u32_e32 v68, 0x800, v34
	v_add_nc_u32_e32 v67, 0x400, v34
	s_wait_loadcnt_dscnt 0x600
	v_dual_mul_f32 v64, v45, v42 :: v_dual_mul_f32 v47, v44, v40
	v_mul_f32_e32 v48, v43, v40
	v_mul_f32_e32 v40, v46, v42
	s_delay_alu instid0(VALU_DEP_3) | instskip(NEXT) | instid1(VALU_DEP_4)
	v_fmac_f32_e32 v64, v46, v41
	v_fma_f32 v47, v43, v39, -v47
	s_delay_alu instid0(VALU_DEP_4) | instskip(NEXT) | instid1(VALU_DEP_4)
	v_fmac_f32_e32 v48, v44, v39
	v_fma_f32 v63, v45, v41, -v40
	ds_store_b64 v34, v[47:48]
	ds_load_2addr_b64 v[39:42], v34 offset0:81 offset1:162
	ds_load_2addr_b64 v[43:46], v67 offset0:115 offset1:196
	;; [unrolled: 1-line block ×3, first 2 shown]
	s_wait_loadcnt_dscnt 0x402
	v_mul_f32_e32 v69, v42, v54
	v_mul_f32_e32 v65, v40, v52
	s_wait_loadcnt_dscnt 0x201
	v_dual_mul_f32 v66, v39, v52 :: v_dual_mul_f32 v71, v46, v58
	v_mul_f32_e32 v52, v41, v54
	s_wait_loadcnt_dscnt 0x0
	v_dual_mul_f32 v70, v44, v56 :: v_dual_mul_f32 v73, v50, v62
	v_mul_f32_e32 v54, v43, v56
	v_mul_f32_e32 v56, v45, v58
	;; [unrolled: 1-line block ×5, first 2 shown]
	v_fma_f32 v65, v39, v51, -v65
	v_fmac_f32_e32 v66, v40, v51
	v_fma_f32 v51, v41, v53, -v69
	v_fmac_f32_e32 v52, v42, v53
	;; [unrolled: 2-line block ×6, first 2 shown]
	ds_store_2addr_b64 v34, v[65:66], v[51:52] offset0:81 offset1:162
	ds_store_2addr_b64 v67, v[53:54], v[55:56] offset0:115 offset1:196
	;; [unrolled: 1-line block ×3, first 2 shown]
	ds_store_b64 v34, v[63:64] offset:4536
.LBB0_9:
	s_wait_alu 0xfffe
	s_or_b32 exec_lo, exec_lo, s4
	global_wb scope:SCOPE_SE
	s_wait_dscnt 0x0
	s_barrier_signal -1
	s_barrier_wait -1
	global_inv scope:SCOPE_SE
	s_and_saveexec_b32 s4, vcc_lo
	s_cbranch_execz .LBB0_11
; %bb.10:
	v_add_nc_u32_e32 v12, 0x800, v34
	v_add_nc_u32_e32 v16, 0xc00, v34
	ds_load_2addr_b64 v[28:31], v34 offset1:81
	ds_load_2addr_b64 v[8:11], v34 offset0:162 offset1:243
	ds_load_2addr_b64 v[12:15], v12 offset0:68 offset1:149
	;; [unrolled: 1-line block ×3, first 2 shown]
.LBB0_11:
	s_wait_alu 0xfffe
	s_or_b32 exec_lo, exec_lo, s4
	global_wb scope:SCOPE_SE
	s_wait_dscnt 0x0
	s_barrier_signal -1
	s_barrier_wait -1
	global_inv scope:SCOPE_SE
	s_and_saveexec_b32 s4, vcc_lo
	s_cbranch_execz .LBB0_13
; %bb.12:
	v_dual_sub_f32 v39, v29, v13 :: v_dual_sub_f32 v16, v8, v16
	v_dual_sub_f32 v15, v31, v15 :: v_dual_sub_f32 v18, v10, v18
	;; [unrolled: 1-line block ×3, first 2 shown]
	s_delay_alu instid0(VALU_DEP_3) | instskip(SKIP_1) | instid1(VALU_DEP_4)
	v_dual_sub_f32 v17, v9, v17 :: v_dual_sub_f32 v42, v39, v16
	v_fma_f32 v29, v29, 2.0, -v39
	v_fma_f32 v10, v10, 2.0, -v18
	s_delay_alu instid0(VALU_DEP_4)
	v_add_f32_e32 v44, v19, v40
	v_sub_f32_e32 v43, v15, v18
	v_sub_f32_e32 v41, v28, v12
	v_fma_f32 v9, v9, 2.0, -v17
	v_fma_f32 v46, v30, 2.0, -v40
	;; [unrolled: 1-line block ×3, first 2 shown]
	s_delay_alu instid0(VALU_DEP_4) | instskip(SKIP_1) | instid1(VALU_DEP_4)
	v_dual_fmamk_f32 v14, v43, 0x3f3504f3, v42 :: v_dual_add_f32 v45, v17, v41
	v_fma_f32 v28, v28, 2.0, -v41
	v_dual_sub_f32 v9, v29, v9 :: v_dual_sub_f32 v10, v46, v10
	v_fma_f32 v47, v31, 2.0, -v15
	s_delay_alu instid0(VALU_DEP_4)
	v_fmamk_f32 v13, v44, 0x3f3504f3, v45
	v_fma_f32 v11, v11, 2.0, -v19
	v_fmac_f32_e32 v14, 0xbf3504f3, v44
	v_fma_f32 v19, v39, 2.0, -v42
	v_fma_f32 v15, v15, 2.0, -v43
	;; [unrolled: 1-line block ×4, first 2 shown]
	v_dual_sub_f32 v11, v47, v11 :: v_dual_sub_f32 v8, v28, v8
	v_dual_fmac_f32 v13, 0x3f3504f3, v43 :: v_dual_sub_f32 v12, v9, v10
	v_fmamk_f32 v31, v15, 0xbf3504f3, v19
	s_delay_alu instid0(VALU_DEP_4) | instskip(NEXT) | instid1(VALU_DEP_4)
	v_fmamk_f32 v30, v39, 0xbf3504f3, v40
	v_fma_f32 v43, v28, 2.0, -v8
	v_fma_f32 v10, v46, 2.0, -v10
	;; [unrolled: 1-line block ×3, first 2 shown]
	v_fmac_f32_e32 v31, 0xbf3504f3, v39
	v_fma_f32 v9, v29, 2.0, -v9
	v_fma_f32 v29, v47, 2.0, -v11
	v_dual_add_f32 v11, v11, v8 :: v_dual_fmac_f32 v30, 0x3f3504f3, v15
	v_sub_f32_e32 v28, v43, v10
	s_delay_alu instid0(VALU_DEP_3)
	v_dual_sub_f32 v29, v9, v29 :: v_dual_and_b32 v10, 0xffff, v35
	v_fma_f32 v18, v42, 2.0, -v14
	v_fma_f32 v42, v19, 2.0, -v31
	;; [unrolled: 1-line block ×5, first 2 shown]
	v_lshlrev_b32_e32 v9, 3, v10
	v_fma_f32 v17, v45, 2.0, -v13
	v_fma_f32 v15, v8, 2.0, -v11
	ds_store_b128 v9, v[39:42]
	ds_store_b128 v9, v[15:18] offset:16
	ds_store_b128 v9, v[28:31] offset:32
	;; [unrolled: 1-line block ×3, first 2 shown]
.LBB0_13:
	s_wait_alu 0xfffe
	s_or_b32 exec_lo, exec_lo, s4
	global_wb scope:SCOPE_SE
	s_wait_dscnt 0x0
	s_barrier_signal -1
	s_barrier_wait -1
	global_inv scope:SCOPE_SE
	ds_load_2addr_b64 v[8:11], v34 offset1:216
	ds_load_b64 v[12:13], v34 offset:3456
	global_wb scope:SCOPE_SE
	s_wait_dscnt 0x0
	s_barrier_signal -1
	s_barrier_wait -1
	global_inv scope:SCOPE_SE
	v_dual_mul_f32 v14, v1, v11 :: v_dual_mul_f32 v15, v3, v13
	s_delay_alu instid0(VALU_DEP_1) | instskip(NEXT) | instid1(VALU_DEP_2)
	v_dual_mul_f32 v3, v3, v12 :: v_dual_fmac_f32 v14, v0, v10
	v_fmac_f32_e32 v15, v2, v12
	s_delay_alu instid0(VALU_DEP_2) | instskip(SKIP_1) | instid1(VALU_DEP_4)
	v_fma_f32 v3, v2, v13, -v3
	v_mul_f32_e32 v1, v1, v10
	v_add_f32_e32 v2, v8, v14
	s_delay_alu instid0(VALU_DEP_2) | instskip(NEXT) | instid1(VALU_DEP_1)
	v_fma_f32 v0, v0, v11, -v1
	v_dual_add_f32 v1, v14, v15 :: v_dual_add_f32 v12, v9, v0
	v_add_f32_e32 v10, v0, v3
	v_sub_f32_e32 v11, v0, v3
	s_delay_alu instid0(VALU_DEP_3) | instskip(SKIP_3) | instid1(VALU_DEP_4)
	v_fma_f32 v0, -0.5, v1, v8
	v_sub_f32_e32 v13, v14, v15
	v_add_f32_e32 v3, v12, v3
	v_fma_f32 v1, -0.5, v10, v9
	v_fmamk_f32 v8, v11, 0xbf5db3d7, v0
	v_add_f32_e32 v2, v2, v15
	s_delay_alu instid0(VALU_DEP_3)
	v_dual_fmac_f32 v0, 0x3f5db3d7, v11 :: v_dual_fmamk_f32 v9, v13, 0x3f5db3d7, v1
	v_fmac_f32_e32 v1, 0xbf5db3d7, v13
	ds_store_2addr_b64 v36, v[2:3], v[8:9] offset1:8
	ds_store_b64 v36, v[0:1] offset:128
	global_wb scope:SCOPE_SE
	s_wait_dscnt 0x0
	s_barrier_signal -1
	s_barrier_wait -1
	global_inv scope:SCOPE_SE
	ds_load_2addr_b64 v[0:3], v34 offset1:216
	ds_load_b64 v[8:9], v34 offset:3456
	global_wb scope:SCOPE_SE
	s_wait_dscnt 0x0
	s_barrier_signal -1
	s_barrier_wait -1
	global_inv scope:SCOPE_SE
	v_dual_mul_f32 v10, v5, v3 :: v_dual_mul_f32 v11, v7, v9
	s_delay_alu instid0(VALU_DEP_1) | instskip(NEXT) | instid1(VALU_DEP_2)
	v_dual_mul_f32 v7, v7, v8 :: v_dual_fmac_f32 v10, v4, v2
	v_fmac_f32_e32 v11, v6, v8
	v_mul_f32_e32 v5, v5, v2
	s_delay_alu instid0(VALU_DEP_1) | instskip(NEXT) | instid1(VALU_DEP_3)
	v_fma_f32 v2, v4, v3, -v5
	v_add_f32_e32 v4, v10, v11
	v_fma_f32 v3, v6, v9, -v7
	v_add_f32_e32 v5, v0, v10
	s_delay_alu instid0(VALU_DEP_4) | instskip(NEXT) | instid1(VALU_DEP_4)
	v_add_f32_e32 v8, v1, v2
	v_fma_f32 v0, -0.5, v4, v0
	s_delay_alu instid0(VALU_DEP_4) | instskip(SKIP_1) | instid1(VALU_DEP_4)
	v_add_f32_e32 v6, v2, v3
	v_sub_f32_e32 v7, v2, v3
	v_add_f32_e32 v3, v8, v3
	s_delay_alu instid0(VALU_DEP_3) | instskip(NEXT) | instid1(VALU_DEP_3)
	v_fma_f32 v1, -0.5, v6, v1
	v_fmamk_f32 v4, v7, 0xbf5db3d7, v0
	v_fmac_f32_e32 v0, 0x3f5db3d7, v7
	v_sub_f32_e32 v9, v10, v11
	v_add_f32_e32 v2, v5, v11
	s_delay_alu instid0(VALU_DEP_2)
	v_fmamk_f32 v5, v9, 0x3f5db3d7, v1
	v_fmac_f32_e32 v1, 0xbf5db3d7, v9
	ds_store_2addr_b64 v37, v[2:3], v[4:5] offset1:24
	ds_store_b64 v37, v[0:1] offset:384
	global_wb scope:SCOPE_SE
	s_wait_dscnt 0x0
	s_barrier_signal -1
	s_barrier_wait -1
	global_inv scope:SCOPE_SE
	ds_load_2addr_b64 v[0:3], v34 offset1:216
	ds_load_b64 v[4:5], v34 offset:3456
	global_wb scope:SCOPE_SE
	s_wait_dscnt 0x0
	s_barrier_signal -1
	s_barrier_wait -1
	global_inv scope:SCOPE_SE
	v_dual_mul_f32 v6, v21, v3 :: v_dual_mul_f32 v7, v23, v5
	v_mul_f32_e32 v8, v21, v2
	s_delay_alu instid0(VALU_DEP_2) | instskip(NEXT) | instid1(VALU_DEP_2)
	v_fmac_f32_e32 v6, v20, v2
	v_fma_f32 v2, v20, v3, -v8
	s_delay_alu instid0(VALU_DEP_1) | instskip(NEXT) | instid1(VALU_DEP_1)
	v_dual_mul_f32 v9, v23, v4 :: v_dual_add_f32 v10, v1, v2
	v_fma_f32 v3, v22, v5, -v9
	s_delay_alu instid0(VALU_DEP_1) | instskip(SKIP_3) | instid1(VALU_DEP_4)
	v_add_f32_e32 v8, v2, v3
	v_sub_f32_e32 v9, v2, v3
	v_fmac_f32_e32 v7, v22, v4
	v_add_f32_e32 v5, v0, v6
	v_fma_f32 v1, -0.5, v8, v1
	s_delay_alu instid0(VALU_DEP_3) | instskip(NEXT) | instid1(VALU_DEP_1)
	v_add_f32_e32 v4, v6, v7
	v_fma_f32 v0, -0.5, v4, v0
	s_delay_alu instid0(VALU_DEP_1) | instskip(SKIP_2) | instid1(VALU_DEP_1)
	v_dual_add_f32 v3, v10, v3 :: v_dual_fmamk_f32 v4, v9, 0xbf5db3d7, v0
	v_fmac_f32_e32 v0, 0x3f5db3d7, v9
	v_sub_f32_e32 v6, v6, v7
	v_dual_add_f32 v2, v5, v7 :: v_dual_fmamk_f32 v5, v6, 0x3f5db3d7, v1
	v_fmac_f32_e32 v1, 0xbf5db3d7, v6
	ds_store_2addr_b64 v38, v[2:3], v[4:5] offset1:72
	ds_store_b64 v38, v[0:1] offset:1152
	global_wb scope:SCOPE_SE
	s_wait_dscnt 0x0
	s_barrier_signal -1
	s_barrier_wait -1
	global_inv scope:SCOPE_SE
	ds_load_2addr_b64 v[0:3], v34 offset1:216
	ds_load_b64 v[4:5], v34 offset:3456
	s_wait_dscnt 0x1
	v_mul_f32_e32 v6, v25, v3
	s_wait_dscnt 0x0
	v_dual_mul_f32 v8, v25, v2 :: v_dual_mul_f32 v7, v27, v5
	s_delay_alu instid0(VALU_DEP_2) | instskip(NEXT) | instid1(VALU_DEP_2)
	v_fmac_f32_e32 v6, v24, v2
	v_fma_f32 v2, v24, v3, -v8
	s_delay_alu instid0(VALU_DEP_1) | instskip(NEXT) | instid1(VALU_DEP_1)
	v_dual_fmac_f32 v7, v26, v4 :: v_dual_add_f32 v10, v1, v2
	v_dual_mul_f32 v9, v27, v4 :: v_dual_add_f32 v4, v6, v7
	s_delay_alu instid0(VALU_DEP_1) | instskip(SKIP_1) | instid1(VALU_DEP_3)
	v_fma_f32 v3, v26, v5, -v9
	v_add_f32_e32 v5, v0, v6
	v_fma_f32 v0, -0.5, v4, v0
	v_sub_f32_e32 v6, v6, v7
	s_delay_alu instid0(VALU_DEP_4) | instskip(SKIP_2) | instid1(VALU_DEP_3)
	v_add_f32_e32 v8, v2, v3
	v_sub_f32_e32 v9, v2, v3
	v_add_f32_e32 v3, v10, v3
	v_fma_f32 v1, -0.5, v8, v1
	s_delay_alu instid0(VALU_DEP_3) | instskip(SKIP_1) | instid1(VALU_DEP_3)
	v_fmamk_f32 v4, v9, 0xbf5db3d7, v0
	v_add_f32_e32 v2, v5, v7
	v_dual_fmac_f32 v0, 0x3f5db3d7, v9 :: v_dual_fmamk_f32 v5, v6, 0x3f5db3d7, v1
	v_fmac_f32_e32 v1, 0xbf5db3d7, v6
	ds_store_2addr_b64 v34, v[2:3], v[4:5] offset1:216
	ds_store_b64 v34, v[0:1] offset:3456
	global_wb scope:SCOPE_SE
	s_wait_dscnt 0x0
	s_barrier_signal -1
	s_barrier_wait -1
	global_inv scope:SCOPE_SE
	s_and_b32 exec_lo, exec_lo, vcc_lo
	s_cbranch_execz .LBB0_15
; %bb.14:
	s_clause 0x7
	global_load_b64 v[12:13], v34, s[12:13]
	global_load_b64 v[14:15], v34, s[12:13] offset:648
	global_load_b64 v[16:17], v34, s[12:13] offset:1296
	;; [unrolled: 1-line block ×7, first 2 shown]
	ds_load_2addr_b64 v[0:3], v34 offset0:81 offset1:162
	ds_load_b64 v[28:29], v34
	v_add_nc_u32_e32 v4, 0x400, v34
	v_add_nc_u32_e32 v8, 0x800, v34
	s_mov_b32 s4, 0xfcd6e9e0
	s_mov_b32 s5, 0x3f5948b0
	s_wait_loadcnt_dscnt 0x601
	v_mul_f32_e32 v35, v1, v15
	ds_load_2addr_b64 v[4:7], v4 offset0:115 offset1:196
	ds_load_2addr_b64 v[8:11], v8 offset0:149 offset1:230
	ds_load_b64 v[30:31], v34 offset:4536
	s_wait_dscnt 0x3
	v_dual_mul_f32 v34, v29, v13 :: v_dual_mul_f32 v15, v0, v15
	v_mul_f32_e32 v13, v28, v13
	s_wait_loadcnt 0x5
	v_mul_f32_e32 v36, v3, v17
	s_delay_alu instid0(VALU_DEP_3) | instskip(NEXT) | instid1(VALU_DEP_3)
	v_dual_mul_f32 v17, v2, v17 :: v_dual_fmac_f32 v34, v28, v12
	v_fma_f32 v12, v12, v29, -v13
	v_fma_f32 v13, v14, v1, -v15
	s_wait_loadcnt_dscnt 0x402
	v_mul_f32_e32 v37, v5, v19
	s_wait_loadcnt 0x3
	v_dual_mul_f32 v19, v4, v19 :: v_dual_mul_f32 v38, v7, v21
	v_mul_f32_e32 v21, v6, v21
	s_wait_loadcnt_dscnt 0x101
	v_dual_mul_f32 v39, v9, v23 :: v_dual_mul_f32 v40, v11, v25
	v_dual_mul_f32 v23, v8, v23 :: v_dual_fmac_f32 v36, v2, v16
	v_mul_f32_e32 v25, v10, v25
	s_delay_alu instid0(VALU_DEP_3)
	v_dual_fmac_f32 v35, v0, v14 :: v_dual_fmac_f32 v40, v10, v24
	s_wait_loadcnt_dscnt 0x0
	v_dual_mul_f32 v41, v31, v27 :: v_dual_fmac_f32 v38, v6, v20
	v_mul_f32_e32 v27, v30, v27
	v_fma_f32 v14, v16, v3, -v17
	v_fmac_f32_e32 v37, v4, v18
	v_fma_f32 v15, v18, v5, -v19
	v_fma_f32 v18, v20, v7, -v21
	v_fmac_f32_e32 v39, v8, v22
	v_fma_f32 v22, v22, v9, -v23
	v_cvt_f64_f32_e32 v[0:1], v34
	v_cvt_f64_f32_e32 v[2:3], v12
	v_fma_f32 v28, v24, v11, -v25
	v_cvt_f64_f32_e32 v[4:5], v35
	v_cvt_f64_f32_e32 v[6:7], v13
	v_fmac_f32_e32 v41, v30, v26
	v_fma_f32 v30, v26, v31, -v27
	v_cvt_f64_f32_e32 v[8:9], v36
	v_cvt_f64_f32_e32 v[10:11], v14
	;; [unrolled: 1-line block ×12, first 2 shown]
	v_mad_co_u64_u32 v[34:35], null, s2, v32, 0
	v_mad_co_u64_u32 v[36:37], null, s0, v33, 0
	s_delay_alu instid0(VALU_DEP_1) | instskip(NEXT) | instid1(VALU_DEP_1)
	v_mad_co_u64_u32 v[38:39], null, s3, v32, v[35:36]
	v_mad_co_u64_u32 v[32:33], null, s1, v33, v[37:38]
	s_wait_alu 0xfffe
	v_mul_f64_e32 v[0:1], s[4:5], v[0:1]
	v_mul_f64_e32 v[2:3], s[4:5], v[2:3]
	;; [unrolled: 1-line block ×4, first 2 shown]
	v_mov_b32_e32 v35, v38
	s_mul_u64 s[0:1], s[0:1], 0x288
	v_mul_f64_e32 v[8:9], s[4:5], v[8:9]
	v_mul_f64_e32 v[10:11], s[4:5], v[10:11]
	;; [unrolled: 1-line block ×12, first 2 shown]
	v_mov_b32_e32 v37, v32
	v_lshlrev_b64_e32 v[32:33], 3, v[34:35]
	s_delay_alu instid0(VALU_DEP_2) | instskip(NEXT) | instid1(VALU_DEP_2)
	v_lshlrev_b64_e32 v[34:35], 3, v[36:37]
	v_add_co_u32 v32, vcc_lo, s8, v32
	s_delay_alu instid0(VALU_DEP_3) | instskip(NEXT) | instid1(VALU_DEP_2)
	v_add_co_ci_u32_e32 v33, vcc_lo, s9, v33, vcc_lo
	v_add_co_u32 v32, vcc_lo, v32, v34
	s_wait_alu 0xfffd
	s_delay_alu instid0(VALU_DEP_2)
	v_add_co_ci_u32_e32 v33, vcc_lo, v33, v35, vcc_lo
	v_cvt_f32_f64_e32 v0, v[0:1]
	v_cvt_f32_f64_e32 v1, v[2:3]
	;; [unrolled: 1-line block ×14, first 2 shown]
	s_wait_alu 0xfffe
	v_add_co_u32 v16, vcc_lo, v32, s0
	v_cvt_f32_f64_e32 v14, v[28:29]
	v_cvt_f32_f64_e32 v15, v[30:31]
	s_wait_alu 0xfffd
	v_add_co_ci_u32_e32 v17, vcc_lo, s1, v33, vcc_lo
	v_add_co_u32 v18, vcc_lo, v16, s0
	s_wait_alu 0xfffd
	s_delay_alu instid0(VALU_DEP_2) | instskip(NEXT) | instid1(VALU_DEP_2)
	v_add_co_ci_u32_e32 v19, vcc_lo, s1, v17, vcc_lo
	v_add_co_u32 v20, vcc_lo, v18, s0
	s_wait_alu 0xfffd
	s_delay_alu instid0(VALU_DEP_2) | instskip(NEXT) | instid1(VALU_DEP_2)
	;; [unrolled: 4-line block ×5, first 2 shown]
	v_add_co_ci_u32_e32 v27, vcc_lo, s1, v25, vcc_lo
	v_add_co_u32 v28, vcc_lo, v26, s0
	s_wait_alu 0xfffd
	s_delay_alu instid0(VALU_DEP_2)
	v_add_co_ci_u32_e32 v29, vcc_lo, s1, v27, vcc_lo
	s_clause 0x4
	global_store_b64 v[32:33], v[0:1], off
	global_store_b64 v[16:17], v[2:3], off
	;; [unrolled: 1-line block ×8, first 2 shown]
.LBB0_15:
	s_nop 0
	s_sendmsg sendmsg(MSG_DEALLOC_VGPRS)
	s_endpgm
	.section	.rodata,"a",@progbits
	.p2align	6, 0x0
	.amdhsa_kernel bluestein_single_back_len648_dim1_sp_op_CI_CI
		.amdhsa_group_segment_fixed_size 5184
		.amdhsa_private_segment_fixed_size 0
		.amdhsa_kernarg_size 104
		.amdhsa_user_sgpr_count 2
		.amdhsa_user_sgpr_dispatch_ptr 0
		.amdhsa_user_sgpr_queue_ptr 0
		.amdhsa_user_sgpr_kernarg_segment_ptr 1
		.amdhsa_user_sgpr_dispatch_id 0
		.amdhsa_user_sgpr_private_segment_size 0
		.amdhsa_wavefront_size32 1
		.amdhsa_uses_dynamic_stack 0
		.amdhsa_enable_private_segment 0
		.amdhsa_system_sgpr_workgroup_id_x 1
		.amdhsa_system_sgpr_workgroup_id_y 0
		.amdhsa_system_sgpr_workgroup_id_z 0
		.amdhsa_system_sgpr_workgroup_info 0
		.amdhsa_system_vgpr_workitem_id 0
		.amdhsa_next_free_vgpr 74
		.amdhsa_next_free_sgpr 14
		.amdhsa_reserve_vcc 1
		.amdhsa_float_round_mode_32 0
		.amdhsa_float_round_mode_16_64 0
		.amdhsa_float_denorm_mode_32 3
		.amdhsa_float_denorm_mode_16_64 3
		.amdhsa_fp16_overflow 0
		.amdhsa_workgroup_processor_mode 1
		.amdhsa_memory_ordered 1
		.amdhsa_forward_progress 0
		.amdhsa_round_robin_scheduling 0
		.amdhsa_exception_fp_ieee_invalid_op 0
		.amdhsa_exception_fp_denorm_src 0
		.amdhsa_exception_fp_ieee_div_zero 0
		.amdhsa_exception_fp_ieee_overflow 0
		.amdhsa_exception_fp_ieee_underflow 0
		.amdhsa_exception_fp_ieee_inexact 0
		.amdhsa_exception_int_div_zero 0
	.end_amdhsa_kernel
	.text
.Lfunc_end0:
	.size	bluestein_single_back_len648_dim1_sp_op_CI_CI, .Lfunc_end0-bluestein_single_back_len648_dim1_sp_op_CI_CI
                                        ; -- End function
	.section	.AMDGPU.csdata,"",@progbits
; Kernel info:
; codeLenInByte = 5548
; NumSgprs: 16
; NumVgprs: 74
; ScratchSize: 0
; MemoryBound: 0
; FloatMode: 240
; IeeeMode: 1
; LDSByteSize: 5184 bytes/workgroup (compile time only)
; SGPRBlocks: 1
; VGPRBlocks: 9
; NumSGPRsForWavesPerEU: 16
; NumVGPRsForWavesPerEU: 74
; Occupancy: 16
; WaveLimiterHint : 1
; COMPUTE_PGM_RSRC2:SCRATCH_EN: 0
; COMPUTE_PGM_RSRC2:USER_SGPR: 2
; COMPUTE_PGM_RSRC2:TRAP_HANDLER: 0
; COMPUTE_PGM_RSRC2:TGID_X_EN: 1
; COMPUTE_PGM_RSRC2:TGID_Y_EN: 0
; COMPUTE_PGM_RSRC2:TGID_Z_EN: 0
; COMPUTE_PGM_RSRC2:TIDIG_COMP_CNT: 0
	.text
	.p2alignl 7, 3214868480
	.fill 96, 4, 3214868480
	.type	__hip_cuid_ff8b06c5be01eeda,@object ; @__hip_cuid_ff8b06c5be01eeda
	.section	.bss,"aw",@nobits
	.globl	__hip_cuid_ff8b06c5be01eeda
__hip_cuid_ff8b06c5be01eeda:
	.byte	0                               ; 0x0
	.size	__hip_cuid_ff8b06c5be01eeda, 1

	.ident	"AMD clang version 19.0.0git (https://github.com/RadeonOpenCompute/llvm-project roc-6.4.0 25133 c7fe45cf4b819c5991fe208aaa96edf142730f1d)"
	.section	".note.GNU-stack","",@progbits
	.addrsig
	.addrsig_sym __hip_cuid_ff8b06c5be01eeda
	.amdgpu_metadata
---
amdhsa.kernels:
  - .args:
      - .actual_access:  read_only
        .address_space:  global
        .offset:         0
        .size:           8
        .value_kind:     global_buffer
      - .actual_access:  read_only
        .address_space:  global
        .offset:         8
        .size:           8
        .value_kind:     global_buffer
      - .actual_access:  read_only
        .address_space:  global
        .offset:         16
        .size:           8
        .value_kind:     global_buffer
      - .actual_access:  read_only
        .address_space:  global
        .offset:         24
        .size:           8
        .value_kind:     global_buffer
      - .actual_access:  read_only
        .address_space:  global
        .offset:         32
        .size:           8
        .value_kind:     global_buffer
      - .offset:         40
        .size:           8
        .value_kind:     by_value
      - .address_space:  global
        .offset:         48
        .size:           8
        .value_kind:     global_buffer
      - .address_space:  global
        .offset:         56
        .size:           8
        .value_kind:     global_buffer
      - .address_space:  global
        .offset:         64
        .size:           8
        .value_kind:     global_buffer
      - .address_space:  global
        .offset:         72
        .size:           8
        .value_kind:     global_buffer
      - .offset:         80
        .size:           4
        .value_kind:     by_value
      - .address_space:  global
        .offset:         88
        .size:           8
        .value_kind:     global_buffer
      - .address_space:  global
        .offset:         96
        .size:           8
        .value_kind:     global_buffer
    .group_segment_fixed_size: 5184
    .kernarg_segment_align: 8
    .kernarg_segment_size: 104
    .language:       OpenCL C
    .language_version:
      - 2
      - 0
    .max_flat_workgroup_size: 216
    .name:           bluestein_single_back_len648_dim1_sp_op_CI_CI
    .private_segment_fixed_size: 0
    .sgpr_count:     16
    .sgpr_spill_count: 0
    .symbol:         bluestein_single_back_len648_dim1_sp_op_CI_CI.kd
    .uniform_work_group_size: 1
    .uses_dynamic_stack: false
    .vgpr_count:     74
    .vgpr_spill_count: 0
    .wavefront_size: 32
    .workgroup_processor_mode: 1
amdhsa.target:   amdgcn-amd-amdhsa--gfx1201
amdhsa.version:
  - 1
  - 2
...

	.end_amdgpu_metadata
